;; amdgpu-corpus repo=ROCm/rocm-examples kind=compiled arch=gfx1100 opt=O3
	.text
	.amdgcn_target "amdgcn-amd-amdhsa--gfx1100"
	.amdhsa_code_object_version 6
	.protected	_Z15hgemm_rocwmma_djjjPKDF16_S0_S0_PDF16_jjjjff ; -- Begin function _Z15hgemm_rocwmma_djjjPKDF16_S0_S0_PDF16_jjjjff
	.globl	_Z15hgemm_rocwmma_djjjPKDF16_S0_S0_PDF16_jjjjff
	.p2align	8
	.type	_Z15hgemm_rocwmma_djjjPKDF16_S0_S0_PDF16_jjjjff,@function
_Z15hgemm_rocwmma_djjjPKDF16_S0_S0_PDF16_jjjjff: ; @_Z15hgemm_rocwmma_djjjPKDF16_S0_S0_PDF16_jjjjff
; %bb.0:
	s_clause 0x1
	s_load_b32 s2, s[0:1], 0x54
	s_load_b128 s[16:19], s[0:1], 0x0
	v_and_b32_e32 v1, 0x3ff, v0
	v_bfe_u32 v0, v0, 10, 10
	s_waitcnt lgkmcnt(0)
	s_and_b32 s3, s2, 0xffff
	s_lshr_b32 s2, s2, 16
	v_mad_u64_u32 v[2:3], null, s14, s3, v[1:2]
	s_mul_i32 s15, s15, s2
	s_delay_alu instid0(SALU_CYCLE_1) | instskip(NEXT) | instid1(VALU_DEP_2)
	v_add_lshl_u32 v8, s15, v0, 4
	v_lshrrev_b32_e32 v2, 1, v2
	s_delay_alu instid0(VALU_DEP_2) | instskip(NEXT) | instid1(VALU_DEP_2)
	v_cmp_gt_u32_e64 s2, s17, v8
	v_and_b32_e32 v13, 0x7ffffff0, v2
	s_delay_alu instid0(VALU_DEP_1) | instskip(NEXT) | instid1(VALU_DEP_3)
	v_cmp_gt_u32_e32 vcc_lo, s16, v13
	s_and_b32 s2, vcc_lo, s2
	s_delay_alu instid0(SALU_CYCLE_1)
	s_and_saveexec_b32 s3, s2
	s_cbranch_execz .LBB0_7
; %bb.1:
	s_clause 0x2
	s_load_b256 s[4:11], s[0:1], 0x10
	s_load_b128 s[12:15], s[0:1], 0x30
	s_load_b64 s[0:1], s[0:1], 0x40
	v_and_b32_e32 v14, 15, v1
	v_lshrrev_b32_e32 v15, 1, v1
	s_cmp_lg_u32 s18, 0
	s_cbranch_scc0 .LBB0_8
; %bb.2:
	v_and_b32_e32 v9, 15, v1
	s_delay_alu instid0(VALU_DEP_2)
	v_and_b32_e32 v10, 8, v15
	s_waitcnt lgkmcnt(0)
	v_mul_lo_u32 v16, v13, s12
	v_mul_lo_u32 v17, v8, s13
	s_mov_b32 s2, 0
	v_mad_u64_u32 v[11:12], null, v9, s12, v[10:11]
	v_mov_b32_e32 v12, 0
	s_delay_alu instid0(VALU_DEP_1) | instskip(NEXT) | instid1(VALU_DEP_3)
	v_mov_b32_e32 v1, v12
	v_mad_u64_u32 v[3:4], null, v9, s13, v[10:11]
	v_mov_b32_e32 v4, v12
	v_lshlrev_b64 v[5:6], 1, v[11:12]
	v_mov_b32_e32 v0, v12
	v_mov_b32_e32 v2, v12
	;; [unrolled: 1-line block ×3, first 2 shown]
	v_lshlrev_b64 v[3:4], 1, v[3:4]
	v_add_co_u32 v18, vcc_lo, s4, v5
	v_add_co_ci_u32_e32 v19, vcc_lo, s5, v6, vcc_lo
	v_mov_b32_e32 v5, v12
	s_delay_alu instid0(VALU_DEP_4)
	v_add_co_u32 v20, vcc_lo, s6, v3
	v_add_co_ci_u32_e32 v21, vcc_lo, s7, v4, vcc_lo
	v_mov_b32_e32 v3, v12
	v_mov_b32_e32 v4, v12
	;; [unrolled: 1-line block ×3, first 2 shown]
	s_set_inst_prefetch_distance 0x1
	.p2align	6
.LBB0_3:                                ; =>This Inner Loop Header: Depth=1
	v_add_nc_u32_e32 v11, s2, v16
	s_delay_alu instid0(VALU_DEP_1) | instskip(SKIP_2) | instid1(SALU_CYCLE_1)
	v_lshlrev_b64 v[22:23], 1, v[11:12]
	v_add_nc_u32_e32 v11, s2, v17
	s_add_i32 s2, s2, 16
	s_cmp_ge_u32 s2, s18
	s_delay_alu instid0(VALU_DEP_1) | instskip(NEXT) | instid1(VALU_DEP_3)
	v_lshlrev_b64 v[24:25], 1, v[11:12]
	v_add_co_u32 v22, vcc_lo, v18, v22
	v_add_co_ci_u32_e32 v23, vcc_lo, v19, v23, vcc_lo
	s_delay_alu instid0(VALU_DEP_3) | instskip(NEXT) | instid1(VALU_DEP_4)
	v_add_co_u32 v26, vcc_lo, v20, v24
	v_add_co_ci_u32_e32 v27, vcc_lo, v21, v25, vcc_lo
	global_load_b128 v[22:25], v[22:23], off
	global_load_b128 v[30:33], v[26:27], off
	s_waitcnt vmcnt(1)
	ds_swizzle_b32 v26, v22 offset:swizzle(SWAP,16)
	ds_swizzle_b32 v27, v23 offset:swizzle(SWAP,16)
	;; [unrolled: 1-line block ×4, first 2 shown]
	s_waitcnt vmcnt(0)
	ds_swizzle_b32 v34, v30 offset:swizzle(SWAP,16)
	ds_swizzle_b32 v35, v31 offset:swizzle(SWAP,16)
	;; [unrolled: 1-line block ×4, first 2 shown]
	s_waitcnt lgkmcnt(0)
	v_wmma_f32_16x16x16_f16 v[0:7], v[22:29], v[30:37], v[0:7]
	s_cbranch_scc0 .LBB0_3
; %bb.4:
	s_set_inst_prefetch_distance 0x2
	s_branch .LBB0_6
.LBB0_5:
	v_dual_mov_b32 v0, 0 :: v_dual_mov_b32 v9, v14
	s_delay_alu instid0(VALU_DEP_1)
	v_dual_mov_b32 v1, v0 :: v_dual_and_b32 v10, 8, v15
	v_mov_b32_e32 v2, v0
	v_mov_b32_e32 v3, v0
	;; [unrolled: 1-line block ×6, first 2 shown]
.LBB0_6:
	s_waitcnt lgkmcnt(0)
	v_mad_u64_u32 v[11:12], null, v13, s14, v[8:9]
	v_mad_u64_u32 v[14:15], null, v10, s14, v[9:10]
	v_mov_b32_e32 v12, 0
	s_delay_alu instid0(VALU_DEP_1) | instskip(NEXT) | instid1(VALU_DEP_3)
	v_lshlrev_b64 v[16:17], 1, v[11:12]
	v_add_nc_u32_e32 v11, s14, v14
	v_mov_b32_e32 v15, v12
	s_delay_alu instid0(VALU_DEP_2) | instskip(NEXT) | instid1(VALU_DEP_2)
	v_lshlrev_b64 v[18:19], 1, v[11:12]
	v_lshlrev_b64 v[14:15], 1, v[14:15]
	v_add_co_u32 v22, vcc_lo, s8, v16
	v_add_nc_u32_e32 v11, s14, v11
	v_add_co_ci_u32_e32 v23, vcc_lo, s9, v17, vcc_lo
	s_delay_alu instid0(VALU_DEP_3) | instskip(NEXT) | instid1(VALU_DEP_3)
	v_add_co_u32 v14, vcc_lo, v22, v14
	v_lshlrev_b64 v[16:17], 1, v[11:12]
	v_add_nc_u32_e32 v11, s14, v11
	s_delay_alu instid0(VALU_DEP_4) | instskip(SKIP_2) | instid1(VALU_DEP_4)
	v_add_co_ci_u32_e32 v15, vcc_lo, v23, v15, vcc_lo
	v_add_co_u32 v18, vcc_lo, v22, v18
	v_add_co_ci_u32_e32 v19, vcc_lo, v23, v19, vcc_lo
	v_lshlrev_b64 v[20:21], 1, v[11:12]
	v_add_nc_u32_e32 v11, s14, v11
	s_clause 0x1
	global_load_u16 v24, v[18:19], off
	global_load_u16 v25, v[14:15], off
	v_lshlrev_b64 v[14:15], 1, v[11:12]
	v_add_nc_u32_e32 v11, s14, v11
	s_delay_alu instid0(VALU_DEP_1) | instskip(NEXT) | instid1(VALU_DEP_3)
	v_lshlrev_b64 v[18:19], 1, v[11:12]
	v_add_co_u32 v14, vcc_lo, v22, v14
	s_delay_alu instid0(VALU_DEP_4) | instskip(SKIP_1) | instid1(VALU_DEP_4)
	v_add_co_ci_u32_e32 v15, vcc_lo, v23, v15, vcc_lo
	v_add_nc_u32_e32 v11, s14, v11
	v_add_co_u32 v18, vcc_lo, v22, v18
	v_add_co_ci_u32_e32 v19, vcc_lo, v23, v19, vcc_lo
	s_clause 0x1
	global_load_u16 v26, v[14:15], off
	global_load_u16 v27, v[18:19], off
	v_add_co_u32 v14, vcc_lo, v22, v20
	v_add_co_ci_u32_e32 v15, vcc_lo, v23, v21, vcc_lo
	v_add_co_u32 v16, vcc_lo, v22, v16
	v_add_co_ci_u32_e32 v17, vcc_lo, v23, v17, vcc_lo
	s_clause 0x1
	global_load_d16_hi_b16 v24, v[14:15], off
	global_load_d16_hi_b16 v25, v[16:17], off
	v_lshlrev_b64 v[14:15], 1, v[11:12]
	v_add_nc_u32_e32 v11, s14, v11
	s_delay_alu instid0(VALU_DEP_1) | instskip(NEXT) | instid1(VALU_DEP_3)
	v_lshlrev_b64 v[16:17], 1, v[11:12]
	v_add_co_u32 v14, vcc_lo, v22, v14
	s_delay_alu instid0(VALU_DEP_4) | instskip(NEXT) | instid1(VALU_DEP_3)
	v_add_co_ci_u32_e32 v15, vcc_lo, v23, v15, vcc_lo
	v_add_co_u32 v16, vcc_lo, v22, v16
	s_delay_alu instid0(VALU_DEP_4)
	v_add_co_ci_u32_e32 v17, vcc_lo, v23, v17, vcc_lo
	s_clause 0x1
	global_load_d16_hi_b16 v26, v[14:15], off
	global_load_d16_hi_b16 v27, v[16:17], off
	v_mad_u64_u32 v[14:15], null, v13, s15, v[8:9]
	v_mad_u64_u32 v[16:17], null, v10, s15, v[9:10]
	v_mov_b32_e32 v15, v12
	v_mov_b32_e32 v17, v12
	s_delay_alu instid0(VALU_DEP_2) | instskip(NEXT) | instid1(VALU_DEP_4)
	v_lshlrev_b64 v[8:9], 1, v[14:15]
	v_add_nc_u32_e32 v11, s15, v16
	s_delay_alu instid0(VALU_DEP_3) | instskip(NEXT) | instid1(VALU_DEP_3)
	v_lshlrev_b64 v[13:14], 1, v[16:17]
	v_add_co_u32 v10, vcc_lo, s10, v8
	s_delay_alu instid0(VALU_DEP_4) | instskip(NEXT) | instid1(VALU_DEP_4)
	v_add_co_ci_u32_e32 v23, vcc_lo, s11, v9, vcc_lo
	v_lshlrev_b64 v[8:9], 1, v[11:12]
	v_add_nc_u32_e32 v11, s15, v11
	s_delay_alu instid0(VALU_DEP_4) | instskip(NEXT) | instid1(VALU_DEP_4)
	v_add_co_u32 v13, vcc_lo, v10, v13
	v_add_co_ci_u32_e32 v14, vcc_lo, v23, v14, vcc_lo
	s_delay_alu instid0(VALU_DEP_3) | instskip(SKIP_3) | instid1(VALU_DEP_3)
	v_lshlrev_b64 v[15:16], 1, v[11:12]
	v_add_nc_u32_e32 v11, s15, v11
	v_add_co_u32 v8, vcc_lo, v10, v8
	v_add_co_ci_u32_e32 v9, vcc_lo, v23, v9, vcc_lo
	v_lshlrev_b64 v[17:18], 1, v[11:12]
	v_add_nc_u32_e32 v11, s15, v11
	v_add_co_u32 v15, vcc_lo, v10, v15
	v_add_co_ci_u32_e32 v16, vcc_lo, v23, v16, vcc_lo
	s_delay_alu instid0(VALU_DEP_3)
	v_lshlrev_b64 v[19:20], 1, v[11:12]
	v_add_co_u32 v17, vcc_lo, v10, v17
	v_add_co_ci_u32_e32 v18, vcc_lo, v23, v18, vcc_lo
	v_add_nc_u32_e32 v11, s15, v11
	s_waitcnt vmcnt(3)
	ds_swizzle_b32 v21, v24 offset:50688
	s_waitcnt vmcnt(2)
	ds_swizzle_b32 v22, v25 offset:50688
	s_waitcnt lgkmcnt(1)
	v_mov_b32_dpp v21, v25 quad_perm:[0,1,2,3] row_mask:0x5 bank_mask:0xf
	s_waitcnt vmcnt(1)
	ds_swizzle_b32 v28, v26 offset:50688
	s_waitcnt vmcnt(0)
	ds_swizzle_b32 v25, v27 offset:50688
	s_waitcnt lgkmcnt(2)
	v_mov_b32_dpp v24, v22 quad_perm:[0,1,2,3] row_mask:0x5 bank_mask:0xf
	v_cvt_f32_f16_e32 v22, v21
	v_lshrrev_b32_e32 v29, 16, v21
	s_delay_alu instid0(VALU_DEP_3) | instskip(SKIP_1) | instid1(VALU_DEP_4)
	v_cvt_f32_f16_e32 v30, v24
	v_lshrrev_b32_e32 v24, 16, v24
	v_mul_f32_e32 v31, s1, v22
	s_delay_alu instid0(VALU_DEP_4)
	v_cvt_f32_f16_e32 v29, v29
	v_lshlrev_b64 v[21:22], 1, v[11:12]
	v_mul_f32_e32 v30, s1, v30
	v_cvt_f32_f16_e32 v24, v24
	v_fma_mixlo_f16 v31, v0, s0, v31
	v_dual_mul_f32 v0, s1, v29 :: v_dual_add_nc_u32 v11, s15, v11
	s_waitcnt lgkmcnt(1)
	v_mov_b32_dpp v27, v28 quad_perm:[0,1,2,3] row_mask:0x5 bank_mask:0xf
	s_waitcnt lgkmcnt(0)
	v_mov_b32_dpp v25, v26 quad_perm:[0,1,2,3] row_mask:0x5 bank_mask:0xf
	v_fma_mixlo_f16 v26, v4, s0, v30
	v_mul_f32_e32 v4, s1, v24
	v_fma_mixhi_f16 v31, v1, s0, v0
	v_cvt_f32_f16_e32 v24, v27
	v_lshrrev_b32_e32 v27, 16, v27
	v_cvt_f32_f16_e32 v28, v25
	v_lshrrev_b32_e32 v25, 16, v25
	v_fma_mixhi_f16 v26, v5, s0, v4
	v_mul_f32_e32 v0, s1, v24
	v_cvt_f32_f16_e32 v1, v27
	v_mul_f32_e32 v24, s1, v28
	v_cvt_f32_f16_e32 v25, v25
	ds_swizzle_b32 v28, v26 offset:50688
	v_fma_mixlo_f16 v27, v6, s0, v0
	v_mul_f32_e32 v0, s1, v1
	v_fma_mixlo_f16 v24, v2, s0, v24
	v_mul_f32_e32 v1, s1, v25
	ds_swizzle_b32 v25, v31 offset:50688
	v_fma_mixhi_f16 v27, v7, s0, v0
	v_add_co_u32 v0, vcc_lo, v10, v19
	v_fma_mixhi_f16 v24, v3, s0, v1
	v_add_co_ci_u32_e32 v1, vcc_lo, v23, v20, vcc_lo
	ds_swizzle_b32 v19, v27 offset:50688
	v_lshlrev_b64 v[2:3], 1, v[11:12]
	ds_swizzle_b32 v20, v24 offset:50688
	v_add_nc_u32_e32 v11, s15, v11
	v_add_co_u32 v4, vcc_lo, v10, v21
	v_add_co_ci_u32_e32 v5, vcc_lo, v23, v22, vcc_lo
	s_delay_alu instid0(VALU_DEP_3)
	v_lshlrev_b64 v[6:7], 1, v[11:12]
	v_add_co_u32 v2, vcc_lo, v10, v2
	s_waitcnt lgkmcnt(3)
	v_mov_b32_dpp v28, v31 quad_perm:[0,1,2,3] row_mask:0x5 bank_mask:0xf
	s_waitcnt lgkmcnt(2)
	v_mov_b32_dpp v26, v25 quad_perm:[0,1,2,3] row_mask:0x5 bank_mask:0xf
	v_add_co_ci_u32_e32 v3, vcc_lo, v23, v3, vcc_lo
	v_add_co_u32 v6, vcc_lo, v10, v6
	v_add_co_ci_u32_e32 v7, vcc_lo, v23, v7, vcc_lo
	global_store_b16 v[13:14], v28, off
	s_waitcnt lgkmcnt(1)
	v_mov_b32_dpp v19, v24 quad_perm:[0,1,2,3] row_mask:0x5 bank_mask:0xf
	s_waitcnt lgkmcnt(0)
	v_mov_b32_dpp v27, v20 quad_perm:[0,1,2,3] row_mask:0x5 bank_mask:0xf
	s_clause 0x6
	global_store_b16 v[8:9], v26, off
	global_store_d16_hi_b16 v[15:16], v28, off
	global_store_d16_hi_b16 v[17:18], v26, off
	global_store_b16 v[0:1], v19, off
	global_store_b16 v[4:5], v27, off
	global_store_d16_hi_b16 v[2:3], v19, off
	global_store_d16_hi_b16 v[6:7], v27, off
.LBB0_7:
	s_nop 0
	s_sendmsg sendmsg(MSG_DEALLOC_VGPRS)
	s_endpgm
.LBB0_8:
                                        ; implicit-def: $vgpr7
                                        ; implicit-def: $vgpr9
                                        ; implicit-def: $vgpr10
	s_cbranch_execnz .LBB0_5
	s_branch .LBB0_6
	.section	.rodata,"a",@progbits
	.p2align	6, 0x0
	.amdhsa_kernel _Z15hgemm_rocwmma_djjjPKDF16_S0_S0_PDF16_jjjjff
		.amdhsa_group_segment_fixed_size 0
		.amdhsa_private_segment_fixed_size 0
		.amdhsa_kernarg_size 328
		.amdhsa_user_sgpr_count 14
		.amdhsa_user_sgpr_dispatch_ptr 0
		.amdhsa_user_sgpr_queue_ptr 0
		.amdhsa_user_sgpr_kernarg_segment_ptr 1
		.amdhsa_user_sgpr_dispatch_id 0
		.amdhsa_user_sgpr_private_segment_size 0
		.amdhsa_wavefront_size32 1
		.amdhsa_uses_dynamic_stack 0
		.amdhsa_enable_private_segment 0
		.amdhsa_system_sgpr_workgroup_id_x 1
		.amdhsa_system_sgpr_workgroup_id_y 1
		.amdhsa_system_sgpr_workgroup_id_z 0
		.amdhsa_system_sgpr_workgroup_info 0
		.amdhsa_system_vgpr_workitem_id 1
		.amdhsa_next_free_vgpr 38
		.amdhsa_next_free_sgpr 20
		.amdhsa_reserve_vcc 1
		.amdhsa_float_round_mode_32 0
		.amdhsa_float_round_mode_16_64 0
		.amdhsa_float_denorm_mode_32 3
		.amdhsa_float_denorm_mode_16_64 3
		.amdhsa_dx10_clamp 1
		.amdhsa_ieee_mode 1
		.amdhsa_fp16_overflow 0
		.amdhsa_workgroup_processor_mode 1
		.amdhsa_memory_ordered 1
		.amdhsa_forward_progress 0
		.amdhsa_shared_vgpr_count 0
		.amdhsa_exception_fp_ieee_invalid_op 0
		.amdhsa_exception_fp_denorm_src 0
		.amdhsa_exception_fp_ieee_div_zero 0
		.amdhsa_exception_fp_ieee_overflow 0
		.amdhsa_exception_fp_ieee_underflow 0
		.amdhsa_exception_fp_ieee_inexact 0
		.amdhsa_exception_int_div_zero 0
	.end_amdhsa_kernel
	.text
.Lfunc_end0:
	.size	_Z15hgemm_rocwmma_djjjPKDF16_S0_S0_PDF16_jjjjff, .Lfunc_end0-_Z15hgemm_rocwmma_djjjPKDF16_S0_S0_PDF16_jjjjff
                                        ; -- End function
	.section	.AMDGPU.csdata,"",@progbits
; Kernel info:
; codeLenInByte = 1564
; NumSgprs: 22
; NumVgprs: 38
; ScratchSize: 0
; MemoryBound: 0
; FloatMode: 240
; IeeeMode: 1
; LDSByteSize: 0 bytes/workgroup (compile time only)
; SGPRBlocks: 2
; VGPRBlocks: 4
; NumSGPRsForWavesPerEU: 22
; NumVGPRsForWavesPerEU: 38
; Occupancy: 16
; WaveLimiterHint : 0
; COMPUTE_PGM_RSRC2:SCRATCH_EN: 0
; COMPUTE_PGM_RSRC2:USER_SGPR: 14
; COMPUTE_PGM_RSRC2:TRAP_HANDLER: 0
; COMPUTE_PGM_RSRC2:TGID_X_EN: 1
; COMPUTE_PGM_RSRC2:TGID_Y_EN: 1
; COMPUTE_PGM_RSRC2:TGID_Z_EN: 0
; COMPUTE_PGM_RSRC2:TIDIG_COMP_CNT: 1
	.text
	.p2alignl 7, 3214868480
	.fill 96, 4, 3214868480
	.type	__hip_cuid_85dd6abbc3b625ae,@object ; @__hip_cuid_85dd6abbc3b625ae
	.section	.bss,"aw",@nobits
	.globl	__hip_cuid_85dd6abbc3b625ae
__hip_cuid_85dd6abbc3b625ae:
	.byte	0                               ; 0x0
	.size	__hip_cuid_85dd6abbc3b625ae, 1

	.ident	"AMD clang version 19.0.0git (https://github.com/RadeonOpenCompute/llvm-project roc-6.4.0 25133 c7fe45cf4b819c5991fe208aaa96edf142730f1d)"
	.section	".note.GNU-stack","",@progbits
	.addrsig
	.addrsig_sym __hip_cuid_85dd6abbc3b625ae
	.amdgpu_metadata
---
amdhsa.kernels:
  - .args:
      - .offset:         0
        .size:           4
        .value_kind:     by_value
      - .offset:         4
        .size:           4
        .value_kind:     by_value
      - .offset:         8
        .size:           4
        .value_kind:     by_value
      - .address_space:  global
        .offset:         16
        .size:           8
        .value_kind:     global_buffer
      - .address_space:  global
        .offset:         24
        .size:           8
        .value_kind:     global_buffer
      - .address_space:  global
        .offset:         32
        .size:           8
        .value_kind:     global_buffer
      - .address_space:  global
        .offset:         40
        .size:           8
        .value_kind:     global_buffer
      - .offset:         48
        .size:           4
        .value_kind:     by_value
      - .offset:         52
        .size:           4
        .value_kind:     by_value
      - .offset:         56
        .size:           4
        .value_kind:     by_value
      - .offset:         60
        .size:           4
        .value_kind:     by_value
      - .offset:         64
        .size:           4
        .value_kind:     by_value
      - .offset:         68
        .size:           4
        .value_kind:     by_value
      - .offset:         72
        .size:           4
        .value_kind:     hidden_block_count_x
      - .offset:         76
        .size:           4
        .value_kind:     hidden_block_count_y
      - .offset:         80
        .size:           4
        .value_kind:     hidden_block_count_z
      - .offset:         84
        .size:           2
        .value_kind:     hidden_group_size_x
      - .offset:         86
        .size:           2
        .value_kind:     hidden_group_size_y
      - .offset:         88
        .size:           2
        .value_kind:     hidden_group_size_z
      - .offset:         90
        .size:           2
        .value_kind:     hidden_remainder_x
      - .offset:         92
        .size:           2
        .value_kind:     hidden_remainder_y
      - .offset:         94
        .size:           2
        .value_kind:     hidden_remainder_z
      - .offset:         112
        .size:           8
        .value_kind:     hidden_global_offset_x
      - .offset:         120
        .size:           8
        .value_kind:     hidden_global_offset_y
      - .offset:         128
        .size:           8
        .value_kind:     hidden_global_offset_z
      - .offset:         136
        .size:           2
        .value_kind:     hidden_grid_dims
    .group_segment_fixed_size: 0
    .kernarg_segment_align: 8
    .kernarg_segment_size: 328
    .language:       OpenCL C
    .language_version:
      - 2
      - 0
    .max_flat_workgroup_size: 1024
    .name:           _Z15hgemm_rocwmma_djjjPKDF16_S0_S0_PDF16_jjjjff
    .private_segment_fixed_size: 0
    .sgpr_count:     22
    .sgpr_spill_count: 0
    .symbol:         _Z15hgemm_rocwmma_djjjPKDF16_S0_S0_PDF16_jjjjff.kd
    .uniform_work_group_size: 1
    .uses_dynamic_stack: false
    .vgpr_count:     38
    .vgpr_spill_count: 0
    .wavefront_size: 32
    .workgroup_processor_mode: 1
amdhsa.target:   amdgcn-amd-amdhsa--gfx1100
amdhsa.version:
  - 1
  - 2
...

	.end_amdgpu_metadata
